;; amdgpu-corpus repo=zjin-lcf/HeCBench kind=compiled arch=gfx1250 opt=O3
	.amdgcn_target "amdgcn-amd-amdhsa--gfx1250"
	.amdhsa_code_object_version 6
	.text
	.protected	_Z9calc_tempiPKfS0_Pfiiiifffff ; -- Begin function _Z9calc_tempiPKfS0_Pfiiiifffff
	.globl	_Z9calc_tempiPKfS0_Pfiiiifffff
	.p2align	8
	.type	_Z9calc_tempiPKfS0_Pfiiiifffff,@function
_Z9calc_tempiPKfS0_Pfiiiifffff:         ; @_Z9calc_tempiPKfS0_Pfiiiifffff
; %bb.0:
	s_clause 0x1
	s_load_b32 s5, s[0:1], 0x0
	s_load_b256 s[8:15], s[0:1], 0x20
	s_bfe_u32 s3, ttmp6, 0x4000c
	s_bfe_u32 s4, ttmp6, 0x40010
	s_add_co_i32 s3, s3, 1
	s_and_b32 s2, ttmp6, 15
	s_add_co_i32 s4, s4, 1
	s_mul_i32 s3, ttmp9, s3
	s_bfe_u32 s6, ttmp6, 0x40004
	s_mul_i32 s4, ttmp7, s4
	s_add_co_i32 s2, s2, s3
	s_getreg_b32 s7, hwreg(HW_REG_IB_STS2, 6, 4)
	s_add_co_i32 s6, s6, s4
	v_and_b32_e32 v5, 0x3ff, v0
	v_bfe_u32 v4, v0, 10, 10
	s_delay_alu instid0(VALU_DEP_2) | instskip(SKIP_2) | instid1(SALU_CYCLE_1)
	v_lshlrev_b32_e32 v7, 2, v5
	s_wait_kmcnt 0x0
	s_lshl_b32 s3, s5, 1
	s_sub_co_i32 s3, 16, s3
	s_cmp_eq_u32 s7, 0
	s_cselect_b32 s4, ttmp7, s6
	s_cselect_b32 s2, ttmp9, s2
	s_mul_i32 s4, s3, s4
	s_mul_i32 s3, s3, s2
	s_sub_co_i32 s11, s4, s11
	s_sub_co_i32 s10, s3, s10
	s_delay_alu instid0(SALU_CYCLE_1) | instskip(NEXT) | instid1(VALU_DEP_1)
	v_dual_add_nc_u32 v0, s11, v4 :: v_dual_add_nc_u32 v1, s10, v5
	v_cmp_gt_i32_e64 s3, s9, v0
	s_delay_alu instid0(VALU_DEP_2) | instskip(SKIP_4) | instid1(SALU_CYCLE_1)
	v_mad_u32 v6, v0, s8, v1
	v_cmp_lt_i32_e32 vcc_lo, -1, v1
	v_cmp_gt_i32_e64 s2, s8, v1
	v_cmp_lt_i32_e64 s4, -1, v0
	s_and_b32 s2, vcc_lo, s2
	s_and_b32 s2, s3, s2
	s_delay_alu instid0(SALU_CYCLE_1) | instskip(NEXT) | instid1(SALU_CYCLE_1)
	s_and_b32 s3, s4, s2
	s_and_saveexec_b32 s2, s3
	s_cbranch_execz .LBB0_2
; %bb.1:
	s_load_b128 s[16:19], s[0:1], 0x8
	v_lshl_add_u32 v2, v4, 6, v7
	s_wait_kmcnt 0x0
	s_clause 0x1
	global_load_b32 v0, v6, s[18:19] scale_offset
	global_load_b32 v1, v6, s[16:17] scale_offset
	s_wait_loadcnt 0x0
	ds_store_2addr_stride64_b32 v2, v0, v1 offset1:4
.LBB0_2:
	s_or_b32 exec_lo, exec_lo, s2
	s_load_b64 s[6:7], s[0:1], 0x18
	s_cmp_lt_i32 s5, 1
	s_wait_dscnt 0x0
	s_barrier_signal -1
	s_barrier_wait -1
	s_cbranch_scc1 .LBB0_13
; %bb.3:
	s_load_b32 s3, s[0:1], 0x40
	v_div_scale_f32 v0, null, s14, s14, 1.0
	v_div_scale_f32 v2, null, s13, s13, 1.0
	;; [unrolled: 1-line block ×3, first 2 shown]
	s_delay_alu instid0(VALU_DEP_3) | instskip(SKIP_1) | instid1(VALU_DEP_3)
	v_xor_b32_e32 v10, 0x80000000, v0
	v_rcp_f32_e32 v0, v0
	v_rcp_f32_e32 v12, v2
	s_delay_alu instid0(VALU_DEP_2)
	v_rcp_f32_e32 v13, v8
	v_xor_b32_e32 v2, 0x80000000, v2
	v_xor_b32_e32 v8, 0x80000000, v8
	s_wait_xcnt 0x0
	v_div_scale_f32 v1, s0, 1.0, s14, 1.0
	v_fma_f32 v15, v10, v0, 1.0
	v_fma_f32 v16, v2, v12, 1.0
	;; [unrolled: 1-line block ×3, first 2 shown]
	v_div_scale_f32 v3, s1, 1.0, s13, 1.0
	s_wait_kmcnt 0x0
	v_div_scale_f32 v11, null, s12, s12, s3
	s_delay_alu instid0(VALU_DEP_3) | instskip(SKIP_1) | instid1(VALU_DEP_3)
	v_dual_fmac_f32 v0, v15, v0 :: v_dual_fmac_f32 v13, v17, v13
	v_div_scale_f32 v9, s2, 1.0, s15, 1.0
	v_rcp_f32_e32 v14, v11
	v_nop
	v_xor_b32_e32 v11, 0x80000000, v11
	s_not_b32 s16, s10
	s_add_co_i32 s17, s10, 15
	s_add_co_i32 s4, s11, 15
	;; [unrolled: 1-line block ×3, first 2 shown]
	s_cmp_ge_i32 s17, s8
	v_fma_f32 v15, v11, v14, 1.0
	v_fmac_f32_e32 v12, v16, v12
	v_div_scale_f32 v16, vcc_lo, s3, s12, s3
	s_delay_alu instid0(VALU_DEP_3) | instskip(SKIP_1) | instid1(VALU_DEP_4)
	v_dual_mul_f32 v18, v9, v13 :: v_dual_fmac_f32 v14, v15, v14
	v_mul_f32_e32 v15, v1, v0
	v_mul_f32_e32 v17, v3, v12
	s_cselect_b32 s8, s16, 15
	s_delay_alu instid0(VALU_DEP_3) | instskip(SKIP_4) | instid1(VALU_DEP_2)
	v_fma_f32 v22, v8, v18, v9
	v_mul_f32_e32 v19, v16, v14
	s_sub_co_i32 s16, 0, s10
	v_fma_f32 v21, v2, v17, v3
	s_ashr_i32 s10, s10, 31
	v_dual_fmac_f32 v18, v22, v13 :: v_dual_fma_f32 v23, v11, v19, v16
	v_fma_f32 v20, v10, v15, v1
	s_delay_alu instid0(VALU_DEP_3) | instskip(SKIP_1) | instid1(VALU_DEP_3)
	v_fmac_f32_e32 v17, v21, v12
	s_not_b32 s17, s11
	v_fmac_f32_e32 v9, v8, v18
	v_fmac_f32_e32 v19, v23, v14
	;; [unrolled: 1-line block ×4, first 2 shown]
	s_and_b32 s10, s10, s16
	s_add_co_i32 s16, s9, s17
	v_fmac_f32_e32 v16, v11, v19
	v_fmac_f32_e32 v1, v10, v15
	s_cmp_ge_i32 s4, s9
	v_add_min_i32_e64 v20, v5, 1, s8
	s_delay_alu instid0(VALU_DEP_3) | instskip(SKIP_1) | instid1(VALU_DEP_1)
	v_div_fmas_f32 v2, v16, v14, v19
	s_mov_b32 vcc_lo, s0
	v_div_fixup_f32 v8, v2, s12, s3
	v_lshlrev_b32_e32 v2, 6, v4
	v_div_fmas_f32 v0, v1, v0, v15
	s_mov_b32 vcc_lo, s1
	s_cselect_b32 s3, s16, 15
	v_div_fmas_f32 v1, v3, v12, v17
	s_mov_b32 vcc_lo, s2
	s_sub_co_i32 s0, 0, s11
	v_div_fmas_f32 v3, v9, v13, v18
	s_ashr_i32 s1, s11, 31
	v_div_fixup_f32 v9, v0, s14, 1.0
	s_and_b32 s2, s1, s0
	v_add_min_i32_e64 v12, v4, 1, s3
	v_div_fixup_f32 v0, v3, s15, 1.0
	v_add_max_i32_e64 v3, v5, -1, s10
	v_add_max_i32_e64 v13, v4, -1, s2
	v_dual_add_nc_u32 v10, v2, v7 :: v_dual_max_i32 v17, v5, v4
	v_div_fixup_f32 v1, v1, s13, 1.0
	v_cmp_gt_i32_e64 s0, s10, v5
	v_cmp_lt_i32_e64 s1, s8, v5
	v_cmp_gt_i32_e64 s2, s2, v4
	v_cmp_lt_i32_e64 s3, s3, v4
	v_add_nc_u32_e32 v11, 0x400, v10
	v_lshl_add_u32 v12, v12, 6, v7
	v_lshl_add_u32 v13, v13, 6, v7
	;; [unrolled: 1-line block ×4, first 2 shown]
	v_add_nc_u32_e32 v16, 0x800, v10
	v_mov_b32_e32 v2, 0x42a00000
	s_mov_b32 s8, 0
	s_add_co_i32 s9, s5, -1
                                        ; implicit-def: $sgpr5
	s_branch .LBB0_6
.LBB0_4:                                ;   in Loop: Header=BB0_6 Depth=1
	s_or_b32 exec_lo, exec_lo, s4
	s_add_co_i32 s8, s8, 1
	s_mov_b32 s4, 0
	s_wait_dscnt 0x0
	s_barrier_signal -1
	s_barrier_wait -1
.LBB0_5:                                ;   in Loop: Header=BB0_6 Depth=1
	s_and_b32 vcc_lo, exec_lo, s4
	s_cbranch_vccnz .LBB0_14
.LBB0_6:                                ; =>This Inner Loop Header: Depth=1
	s_and_not1_b32 s5, s5, exec_lo
	s_mov_b32 s10, exec_lo
	v_cmpx_lt_u32_e64 s8, v5
	s_cbranch_execz .LBB0_10
; %bb.7:                                ;   in Loop: Header=BB0_6 Depth=1
	s_sub_co_i32 s4, 14, s8
	v_cmp_ge_u32_e32 vcc_lo, s8, v4
	v_cmp_lt_i32_e64 s4, s4, v17
	s_or_b32 s4, s4, vcc_lo
	s_delay_alu instid0(SALU_CYCLE_1) | instskip(NEXT) | instid1(SALU_CYCLE_1)
	s_or_b32 s4, s4, s0
	s_or_b32 s4, s4, s1
	s_delay_alu instid0(SALU_CYCLE_1) | instskip(NEXT) | instid1(SALU_CYCLE_1)
	s_or_b32 s4, s4, s2
	s_nor_b32 s12, s4, s3
	s_mov_b32 s4, 0
	s_and_saveexec_b32 s11, s12
	s_cbranch_execz .LBB0_9
; %bb.8:                                ;   in Loop: Header=BB0_6 Depth=1
	ds_load_b32 v18, v10
	ds_load_b32 v3, v12
	;; [unrolled: 1-line block ×6, first 2 shown]
	s_mov_b32 s4, exec_lo
	s_wait_dscnt 0x3
	v_dual_add_f32 v23, v3, v19 :: v_dual_add_f32 v19, v18, v18
	s_wait_dscnt 0x1
	s_delay_alu instid0(VALU_DEP_1) | instskip(NEXT) | instid1(VALU_DEP_1)
	v_dual_add_f32 v3, v20, v21 :: v_dual_fmac_f32 v23, -2.0, v18
	v_pk_add_f32 v[20:21], v[2:3], v[18:19] neg_lo:[0,1] neg_hi:[0,1]
	s_wait_dscnt 0x0
	s_delay_alu instid0(VALU_DEP_2) | instskip(NEXT) | instid1(VALU_DEP_2)
	v_fmac_f32_e32 v22, v9, v23
	v_pk_mul_f32 v[20:21], v[0:1], v[20:21]
	s_delay_alu instid0(VALU_DEP_1) | instskip(NEXT) | instid1(VALU_DEP_1)
	v_add_f32_e32 v3, v22, v21
	v_add_f32_e32 v3, v20, v3
	s_delay_alu instid0(VALU_DEP_1)
	v_fmac_f32_e32 v18, v8, v3
	ds_store_b32 v16, v18
.LBB0_9:                                ;   in Loop: Header=BB0_6 Depth=1
	s_or_b32 exec_lo, exec_lo, s11
	s_delay_alu instid0(SALU_CYCLE_1) | instskip(SKIP_1) | instid1(SALU_CYCLE_1)
	s_and_not1_b32 s5, s5, exec_lo
	s_and_b32 s4, s4, exec_lo
	s_or_b32 s5, s5, s4
.LBB0_10:                               ;   in Loop: Header=BB0_6 Depth=1
	s_or_b32 exec_lo, exec_lo, s10
	s_cmp_eq_u32 s8, s9
	s_mov_b32 s4, -1
	s_wait_dscnt 0x0
	s_barrier_signal -1
	s_barrier_wait -1
	s_cbranch_scc1 .LBB0_5
; %bb.11:                               ;   in Loop: Header=BB0_6 Depth=1
	s_and_saveexec_b32 s4, s5
	s_cbranch_execz .LBB0_4
; %bb.12:                               ;   in Loop: Header=BB0_6 Depth=1
	ds_load_b32 v3, v16
	s_wait_dscnt 0x0
	ds_store_b32 v10, v3
	s_branch .LBB0_4
.LBB0_13:
                                        ; implicit-def: $sgpr5
.LBB0_14:
	s_wait_xcnt 0x0
	s_and_saveexec_b32 s0, s5
	s_cbranch_execz .LBB0_16
; %bb.15:
	v_lshl_add_u32 v0, v4, 6, v7
	ds_load_b32 v0, v0 offset:2048
	s_wait_dscnt 0x0
	s_wait_kmcnt 0x0
	global_store_b32 v6, v0, s[6:7] scale_offset
.LBB0_16:
	s_endpgm
	.section	.rodata,"a",@progbits
	.p2align	6, 0x0
	.amdhsa_kernel _Z9calc_tempiPKfS0_Pfiiiifffff
		.amdhsa_group_segment_fixed_size 3072
		.amdhsa_private_segment_fixed_size 0
		.amdhsa_kernarg_size 68
		.amdhsa_user_sgpr_count 2
		.amdhsa_user_sgpr_dispatch_ptr 0
		.amdhsa_user_sgpr_queue_ptr 0
		.amdhsa_user_sgpr_kernarg_segment_ptr 1
		.amdhsa_user_sgpr_dispatch_id 0
		.amdhsa_user_sgpr_kernarg_preload_length 0
		.amdhsa_user_sgpr_kernarg_preload_offset 0
		.amdhsa_user_sgpr_private_segment_size 0
		.amdhsa_wavefront_size32 1
		.amdhsa_uses_dynamic_stack 0
		.amdhsa_enable_private_segment 0
		.amdhsa_system_sgpr_workgroup_id_x 1
		.amdhsa_system_sgpr_workgroup_id_y 1
		.amdhsa_system_sgpr_workgroup_id_z 0
		.amdhsa_system_sgpr_workgroup_info 0
		.amdhsa_system_vgpr_workitem_id 1
		.amdhsa_next_free_vgpr 24
		.amdhsa_next_free_sgpr 20
		.amdhsa_named_barrier_count 0
		.amdhsa_reserve_vcc 1
		.amdhsa_float_round_mode_32 0
		.amdhsa_float_round_mode_16_64 0
		.amdhsa_float_denorm_mode_32 3
		.amdhsa_float_denorm_mode_16_64 3
		.amdhsa_fp16_overflow 0
		.amdhsa_memory_ordered 1
		.amdhsa_forward_progress 1
		.amdhsa_inst_pref_size 10
		.amdhsa_round_robin_scheduling 0
		.amdhsa_exception_fp_ieee_invalid_op 0
		.amdhsa_exception_fp_denorm_src 0
		.amdhsa_exception_fp_ieee_div_zero 0
		.amdhsa_exception_fp_ieee_overflow 0
		.amdhsa_exception_fp_ieee_underflow 0
		.amdhsa_exception_fp_ieee_inexact 0
		.amdhsa_exception_int_div_zero 0
	.end_amdhsa_kernel
	.text
.Lfunc_end0:
	.size	_Z9calc_tempiPKfS0_Pfiiiifffff, .Lfunc_end0-_Z9calc_tempiPKfS0_Pfiiiifffff
                                        ; -- End function
	.set _Z9calc_tempiPKfS0_Pfiiiifffff.num_vgpr, 24
	.set _Z9calc_tempiPKfS0_Pfiiiifffff.num_agpr, 0
	.set _Z9calc_tempiPKfS0_Pfiiiifffff.numbered_sgpr, 20
	.set _Z9calc_tempiPKfS0_Pfiiiifffff.num_named_barrier, 0
	.set _Z9calc_tempiPKfS0_Pfiiiifffff.private_seg_size, 0
	.set _Z9calc_tempiPKfS0_Pfiiiifffff.uses_vcc, 1
	.set _Z9calc_tempiPKfS0_Pfiiiifffff.uses_flat_scratch, 0
	.set _Z9calc_tempiPKfS0_Pfiiiifffff.has_dyn_sized_stack, 0
	.set _Z9calc_tempiPKfS0_Pfiiiifffff.has_recursion, 0
	.set _Z9calc_tempiPKfS0_Pfiiiifffff.has_indirect_call, 0
	.section	.AMDGPU.csdata,"",@progbits
; Kernel info:
; codeLenInByte = 1276
; TotalNumSgprs: 22
; NumVgprs: 24
; ScratchSize: 0
; MemoryBound: 0
; FloatMode: 240
; IeeeMode: 1
; LDSByteSize: 3072 bytes/workgroup (compile time only)
; SGPRBlocks: 0
; VGPRBlocks: 1
; NumSGPRsForWavesPerEU: 22
; NumVGPRsForWavesPerEU: 24
; NamedBarCnt: 0
; Occupancy: 16
; WaveLimiterHint : 0
; COMPUTE_PGM_RSRC2:SCRATCH_EN: 0
; COMPUTE_PGM_RSRC2:USER_SGPR: 2
; COMPUTE_PGM_RSRC2:TRAP_HANDLER: 0
; COMPUTE_PGM_RSRC2:TGID_X_EN: 1
; COMPUTE_PGM_RSRC2:TGID_Y_EN: 1
; COMPUTE_PGM_RSRC2:TGID_Z_EN: 0
; COMPUTE_PGM_RSRC2:TIDIG_COMP_CNT: 1
	.text
	.p2alignl 7, 3214868480
	.fill 96, 4, 3214868480
	.section	.AMDGPU.gpr_maximums,"",@progbits
	.set amdgpu.max_num_vgpr, 0
	.set amdgpu.max_num_agpr, 0
	.set amdgpu.max_num_sgpr, 0
	.text
	.type	__hip_cuid_e58c18bdff44beaa,@object ; @__hip_cuid_e58c18bdff44beaa
	.section	.bss,"aw",@nobits
	.globl	__hip_cuid_e58c18bdff44beaa
__hip_cuid_e58c18bdff44beaa:
	.byte	0                               ; 0x0
	.size	__hip_cuid_e58c18bdff44beaa, 1

	.ident	"AMD clang version 22.0.0git (https://github.com/RadeonOpenCompute/llvm-project roc-7.2.4 26084 f58b06dce1f9c15707c5f808fd002e18c2accf7e)"
	.section	".note.GNU-stack","",@progbits
	.addrsig
	.addrsig_sym __hip_cuid_e58c18bdff44beaa
	.amdgpu_metadata
---
amdhsa.kernels:
  - .args:
      - .offset:         0
        .size:           4
        .value_kind:     by_value
      - .actual_access:  read_only
        .address_space:  global
        .offset:         8
        .size:           8
        .value_kind:     global_buffer
      - .actual_access:  read_only
        .address_space:  global
        .offset:         16
        .size:           8
        .value_kind:     global_buffer
      - .actual_access:  write_only
        .address_space:  global
        .offset:         24
        .size:           8
        .value_kind:     global_buffer
      - .offset:         32
        .size:           4
        .value_kind:     by_value
      - .offset:         36
        .size:           4
        .value_kind:     by_value
      - .offset:         40
        .size:           4
        .value_kind:     by_value
      - .offset:         44
        .size:           4
        .value_kind:     by_value
      - .offset:         48
        .size:           4
        .value_kind:     by_value
      - .offset:         52
        .size:           4
        .value_kind:     by_value
      - .offset:         56
        .size:           4
        .value_kind:     by_value
      - .offset:         60
        .size:           4
        .value_kind:     by_value
      - .offset:         64
        .size:           4
        .value_kind:     by_value
    .group_segment_fixed_size: 3072
    .kernarg_segment_align: 8
    .kernarg_segment_size: 68
    .language:       OpenCL C
    .language_version:
      - 2
      - 0
    .max_flat_workgroup_size: 1024
    .name:           _Z9calc_tempiPKfS0_Pfiiiifffff
    .private_segment_fixed_size: 0
    .sgpr_count:     22
    .sgpr_spill_count: 0
    .symbol:         _Z9calc_tempiPKfS0_Pfiiiifffff.kd
    .uniform_work_group_size: 1
    .uses_dynamic_stack: false
    .vgpr_count:     24
    .vgpr_spill_count: 0
    .wavefront_size: 32
amdhsa.target:   amdgcn-amd-amdhsa--gfx1250
amdhsa.version:
  - 1
  - 2
...

	.end_amdgpu_metadata
